;; amdgpu-corpus repo=ROCm/rocFFT kind=compiled arch=gfx1030 opt=O3
	.text
	.amdgcn_target "amdgcn-amd-amdhsa--gfx1030"
	.amdhsa_code_object_version 6
	.protected	fft_rtc_fwd_len968_factors_2_2_2_11_11_wgs_176_tpt_88_half_op_CI_CI_sbrr_dirReg ; -- Begin function fft_rtc_fwd_len968_factors_2_2_2_11_11_wgs_176_tpt_88_half_op_CI_CI_sbrr_dirReg
	.globl	fft_rtc_fwd_len968_factors_2_2_2_11_11_wgs_176_tpt_88_half_op_CI_CI_sbrr_dirReg
	.p2align	8
	.type	fft_rtc_fwd_len968_factors_2_2_2_11_11_wgs_176_tpt_88_half_op_CI_CI_sbrr_dirReg,@function
fft_rtc_fwd_len968_factors_2_2_2_11_11_wgs_176_tpt_88_half_op_CI_CI_sbrr_dirReg: ; @fft_rtc_fwd_len968_factors_2_2_2_11_11_wgs_176_tpt_88_half_op_CI_CI_sbrr_dirReg
; %bb.0:
	s_clause 0x2
	s_load_dwordx4 s[16:19], s[4:5], 0x18
	s_load_dwordx4 s[12:15], s[4:5], 0x0
	;; [unrolled: 1-line block ×3, first 2 shown]
	v_mul_u32_u24_e32 v1, 0x2e9, v0
	v_mov_b32_e32 v3, 0
	s_waitcnt lgkmcnt(0)
	s_load_dwordx2 s[20:21], s[16:17], 0x0
	s_load_dwordx2 s[2:3], s[18:19], 0x0
	v_lshrrev_b32_e32 v7, 16, v1
	v_cmp_lt_u64_e64 s0, s[14:15], 2
	v_mov_b32_e32 v1, 0
	v_mov_b32_e32 v6, v3
	;; [unrolled: 1-line block ×3, first 2 shown]
	v_lshl_add_u32 v5, s6, 1, v7
	s_and_b32 vcc_lo, exec_lo, s0
	s_cbranch_vccnz .LBB0_8
; %bb.1:
	s_load_dwordx2 s[0:1], s[4:5], 0x10
	v_mov_b32_e32 v1, 0
	v_mov_b32_e32 v2, 0
	s_add_u32 s6, s18, 8
	s_addc_u32 s7, s19, 0
	s_add_u32 s22, s16, 8
	s_addc_u32 s23, s17, 0
	v_mov_b32_e32 v9, v2
	v_mov_b32_e32 v8, v1
	s_mov_b64 s[26:27], 1
	s_waitcnt lgkmcnt(0)
	s_add_u32 s24, s0, 8
	s_addc_u32 s25, s1, 0
.LBB0_2:                                ; =>This Inner Loop Header: Depth=1
	s_load_dwordx2 s[28:29], s[24:25], 0x0
                                        ; implicit-def: $vgpr10_vgpr11
	s_mov_b32 s0, exec_lo
	s_waitcnt lgkmcnt(0)
	v_or_b32_e32 v4, s29, v6
	v_cmpx_ne_u64_e32 0, v[3:4]
	s_xor_b32 s1, exec_lo, s0
	s_cbranch_execz .LBB0_4
; %bb.3:                                ;   in Loop: Header=BB0_2 Depth=1
	v_cvt_f32_u32_e32 v4, s28
	v_cvt_f32_u32_e32 v10, s29
	s_sub_u32 s0, 0, s28
	s_subb_u32 s30, 0, s29
	v_fmac_f32_e32 v4, 0x4f800000, v10
	v_rcp_f32_e32 v4, v4
	v_mul_f32_e32 v4, 0x5f7ffffc, v4
	v_mul_f32_e32 v10, 0x2f800000, v4
	v_trunc_f32_e32 v10, v10
	v_fmac_f32_e32 v4, 0xcf800000, v10
	v_cvt_u32_f32_e32 v10, v10
	v_cvt_u32_f32_e32 v4, v4
	v_mul_lo_u32 v11, s0, v10
	v_mul_hi_u32 v12, s0, v4
	v_mul_lo_u32 v13, s30, v4
	v_add_nc_u32_e32 v11, v12, v11
	v_mul_lo_u32 v12, s0, v4
	v_add_nc_u32_e32 v11, v11, v13
	v_mul_hi_u32 v13, v4, v12
	v_mul_lo_u32 v14, v4, v11
	v_mul_hi_u32 v15, v4, v11
	v_mul_hi_u32 v16, v10, v12
	v_mul_lo_u32 v12, v10, v12
	v_mul_hi_u32 v17, v10, v11
	v_mul_lo_u32 v11, v10, v11
	v_add_co_u32 v13, vcc_lo, v13, v14
	v_add_co_ci_u32_e32 v14, vcc_lo, 0, v15, vcc_lo
	v_add_co_u32 v12, vcc_lo, v13, v12
	v_add_co_ci_u32_e32 v12, vcc_lo, v14, v16, vcc_lo
	v_add_co_ci_u32_e32 v13, vcc_lo, 0, v17, vcc_lo
	v_add_co_u32 v11, vcc_lo, v12, v11
	v_add_co_ci_u32_e32 v12, vcc_lo, 0, v13, vcc_lo
	v_add_co_u32 v4, vcc_lo, v4, v11
	v_add_co_ci_u32_e32 v10, vcc_lo, v10, v12, vcc_lo
	v_mul_hi_u32 v11, s0, v4
	v_mul_lo_u32 v13, s30, v4
	v_mul_lo_u32 v12, s0, v10
	v_add_nc_u32_e32 v11, v11, v12
	v_mul_lo_u32 v12, s0, v4
	v_add_nc_u32_e32 v11, v11, v13
	v_mul_hi_u32 v13, v4, v12
	v_mul_lo_u32 v14, v4, v11
	v_mul_hi_u32 v15, v4, v11
	v_mul_hi_u32 v16, v10, v12
	v_mul_lo_u32 v12, v10, v12
	v_mul_hi_u32 v17, v10, v11
	v_mul_lo_u32 v11, v10, v11
	v_add_co_u32 v13, vcc_lo, v13, v14
	v_add_co_ci_u32_e32 v14, vcc_lo, 0, v15, vcc_lo
	v_add_co_u32 v12, vcc_lo, v13, v12
	v_add_co_ci_u32_e32 v12, vcc_lo, v14, v16, vcc_lo
	v_add_co_ci_u32_e32 v13, vcc_lo, 0, v17, vcc_lo
	v_add_co_u32 v11, vcc_lo, v12, v11
	v_add_co_ci_u32_e32 v12, vcc_lo, 0, v13, vcc_lo
	v_add_co_u32 v4, vcc_lo, v4, v11
	v_add_co_ci_u32_e32 v14, vcc_lo, v10, v12, vcc_lo
	v_mul_hi_u32 v16, v5, v4
	v_mad_u64_u32 v[12:13], null, v6, v4, 0
	v_mad_u64_u32 v[10:11], null, v5, v14, 0
	;; [unrolled: 1-line block ×3, first 2 shown]
	v_add_co_u32 v4, vcc_lo, v16, v10
	v_add_co_ci_u32_e32 v10, vcc_lo, 0, v11, vcc_lo
	v_add_co_u32 v4, vcc_lo, v4, v12
	v_add_co_ci_u32_e32 v4, vcc_lo, v10, v13, vcc_lo
	v_add_co_ci_u32_e32 v10, vcc_lo, 0, v15, vcc_lo
	v_add_co_u32 v4, vcc_lo, v4, v14
	v_add_co_ci_u32_e32 v12, vcc_lo, 0, v10, vcc_lo
	v_mul_lo_u32 v13, s29, v4
	v_mad_u64_u32 v[10:11], null, s28, v4, 0
	v_mul_lo_u32 v14, s28, v12
	v_sub_co_u32 v10, vcc_lo, v5, v10
	v_add3_u32 v11, v11, v14, v13
	v_sub_nc_u32_e32 v13, v6, v11
	v_subrev_co_ci_u32_e64 v13, s0, s29, v13, vcc_lo
	v_add_co_u32 v14, s0, v4, 2
	v_add_co_ci_u32_e64 v15, s0, 0, v12, s0
	v_sub_co_u32 v16, s0, v10, s28
	v_sub_co_ci_u32_e32 v11, vcc_lo, v6, v11, vcc_lo
	v_subrev_co_ci_u32_e64 v13, s0, 0, v13, s0
	v_cmp_le_u32_e32 vcc_lo, s28, v16
	v_cmp_eq_u32_e64 s0, s29, v11
	v_cndmask_b32_e64 v16, 0, -1, vcc_lo
	v_cmp_le_u32_e32 vcc_lo, s29, v13
	v_cndmask_b32_e64 v17, 0, -1, vcc_lo
	v_cmp_le_u32_e32 vcc_lo, s28, v10
	v_cndmask_b32_e64 v10, 0, -1, vcc_lo
	v_cmp_le_u32_e32 vcc_lo, s29, v11
	v_cndmask_b32_e64 v18, 0, -1, vcc_lo
	v_cmp_eq_u32_e32 vcc_lo, s29, v13
	v_cndmask_b32_e64 v10, v18, v10, s0
	v_cndmask_b32_e32 v13, v17, v16, vcc_lo
	v_add_co_u32 v16, vcc_lo, v4, 1
	v_add_co_ci_u32_e32 v17, vcc_lo, 0, v12, vcc_lo
	v_cmp_ne_u32_e32 vcc_lo, 0, v13
	v_cndmask_b32_e32 v11, v17, v15, vcc_lo
	v_cndmask_b32_e32 v13, v16, v14, vcc_lo
	v_cmp_ne_u32_e32 vcc_lo, 0, v10
	v_cndmask_b32_e32 v11, v12, v11, vcc_lo
	v_cndmask_b32_e32 v10, v4, v13, vcc_lo
.LBB0_4:                                ;   in Loop: Header=BB0_2 Depth=1
	s_andn2_saveexec_b32 s0, s1
	s_cbranch_execz .LBB0_6
; %bb.5:                                ;   in Loop: Header=BB0_2 Depth=1
	v_cvt_f32_u32_e32 v4, s28
	s_sub_i32 s1, 0, s28
	v_rcp_iflag_f32_e32 v4, v4
	v_mul_f32_e32 v4, 0x4f7ffffe, v4
	v_cvt_u32_f32_e32 v4, v4
	v_mul_lo_u32 v10, s1, v4
	v_mul_hi_u32 v10, v4, v10
	v_add_nc_u32_e32 v4, v4, v10
	v_mul_hi_u32 v4, v5, v4
	v_mul_lo_u32 v10, v4, s28
	v_add_nc_u32_e32 v11, 1, v4
	v_sub_nc_u32_e32 v10, v5, v10
	v_subrev_nc_u32_e32 v12, s28, v10
	v_cmp_le_u32_e32 vcc_lo, s28, v10
	v_cndmask_b32_e32 v10, v10, v12, vcc_lo
	v_cndmask_b32_e32 v4, v4, v11, vcc_lo
	v_cmp_le_u32_e32 vcc_lo, s28, v10
	v_add_nc_u32_e32 v11, 1, v4
	v_cndmask_b32_e32 v10, v4, v11, vcc_lo
	v_mov_b32_e32 v11, v3
.LBB0_6:                                ;   in Loop: Header=BB0_2 Depth=1
	s_or_b32 exec_lo, exec_lo, s0
	v_mul_lo_u32 v4, v11, s28
	v_mul_lo_u32 v14, v10, s29
	s_load_dwordx2 s[0:1], s[22:23], 0x0
	v_mad_u64_u32 v[12:13], null, v10, s28, 0
	s_load_dwordx2 s[28:29], s[6:7], 0x0
	s_add_u32 s26, s26, 1
	s_addc_u32 s27, s27, 0
	s_add_u32 s6, s6, 8
	s_addc_u32 s7, s7, 0
	s_add_u32 s22, s22, 8
	v_add3_u32 v4, v13, v14, v4
	v_sub_co_u32 v5, vcc_lo, v5, v12
	s_addc_u32 s23, s23, 0
	s_add_u32 s24, s24, 8
	v_sub_co_ci_u32_e32 v4, vcc_lo, v6, v4, vcc_lo
	s_addc_u32 s25, s25, 0
	s_waitcnt lgkmcnt(0)
	v_mul_lo_u32 v6, s0, v4
	v_mul_lo_u32 v12, s1, v5
	v_mad_u64_u32 v[1:2], null, s0, v5, v[1:2]
	v_mul_lo_u32 v4, s28, v4
	v_mul_lo_u32 v13, s29, v5
	v_mad_u64_u32 v[8:9], null, s28, v5, v[8:9]
	v_cmp_ge_u64_e64 s0, s[26:27], s[14:15]
	v_add3_u32 v2, v12, v2, v6
	v_add3_u32 v9, v13, v9, v4
	s_and_b32 vcc_lo, exec_lo, s0
	s_cbranch_vccnz .LBB0_9
; %bb.7:                                ;   in Loop: Header=BB0_2 Depth=1
	v_mov_b32_e32 v5, v10
	v_mov_b32_e32 v6, v11
	s_branch .LBB0_2
.LBB0_8:
	v_mov_b32_e32 v9, v2
	v_mov_b32_e32 v11, v6
	;; [unrolled: 1-line block ×4, first 2 shown]
.LBB0_9:
	s_load_dwordx2 s[0:1], s[4:5], 0x28
	v_mul_hi_u32 v25, 0x2e8ba2f, v0
	s_lshl_b64 s[6:7], s[14:15], 3
                                        ; implicit-def: $sgpr14
                                        ; implicit-def: $sgpr15
                                        ; implicit-def: $vgpr21
                                        ; implicit-def: $vgpr4
                                        ; implicit-def: $vgpr5
                                        ; implicit-def: $vgpr6
                                        ; implicit-def: $vgpr12
	s_add_u32 s4, s18, s6
	s_addc_u32 s5, s19, s7
	s_waitcnt lgkmcnt(0)
	v_cmp_gt_u64_e32 vcc_lo, s[0:1], v[10:11]
	v_cmp_le_u64_e64 s0, s[0:1], v[10:11]
	s_and_saveexec_b32 s1, s0
	s_xor_b32 s0, exec_lo, s1
; %bb.10:
	v_mul_u32_u24_e32 v1, 0x58, v25
	s_mov_b32 s15, 0
	s_mov_b32 s14, 0
                                        ; implicit-def: $vgpr25
	v_sub_nc_u32_e32 v21, v0, v1
                                        ; implicit-def: $vgpr0
                                        ; implicit-def: $vgpr1_vgpr2
	v_add_nc_u32_e32 v4, 0x58, v21
	v_add_nc_u32_e32 v5, 0xb0, v21
	;; [unrolled: 1-line block ×4, first 2 shown]
; %bb.11:
	s_or_saveexec_b32 s1, s0
	s_load_dwordx2 s[4:5], s[4:5], 0x0
	v_mov_b32_e32 v20, s15
	v_mov_b32_e32 v22, s14
                                        ; implicit-def: $vgpr17
                                        ; implicit-def: $vgpr26
                                        ; implicit-def: $vgpr3
                                        ; implicit-def: $vgpr16
                                        ; implicit-def: $vgpr14
                                        ; implicit-def: $vgpr19
                                        ; implicit-def: $vgpr15
                                        ; implicit-def: $vgpr23
                                        ; implicit-def: $vgpr18
                                        ; implicit-def: $vgpr24
                                        ; implicit-def: $vgpr13
	s_xor_b32 exec_lo, exec_lo, s1
	s_cbranch_execz .LBB0_15
; %bb.12:
	s_add_u32 s6, s16, s6
	s_addc_u32 s7, s17, s7
	v_mul_u32_u24_e32 v3, 0x58, v25
	s_load_dwordx2 s[6:7], s[6:7], 0x0
	v_sub_nc_u32_e32 v21, v0, v3
	v_lshlrev_b64 v[0:1], 2, v[1:2]
	v_mad_u64_u32 v[12:13], null, s20, v21, 0
	v_add_nc_u32_e32 v4, 0x58, v21
	v_add_nc_u32_e32 v22, 0x1e4, v21
	;; [unrolled: 1-line block ×5, first 2 shown]
	v_mad_u64_u32 v[14:15], null, s20, v4, 0
	v_mov_b32_e32 v6, v13
	v_mad_u64_u32 v[2:3], null, s20, v22, 0
	s_waitcnt lgkmcnt(0)
	v_mul_lo_u32 v13, s7, v10
	v_mul_lo_u32 v23, s6, v11
	v_mad_u64_u32 v[16:17], null, s6, v10, 0
	v_mad_u64_u32 v[18:19], null, s21, v21, v[6:7]
	v_mov_b32_e32 v6, v15
	v_mad_u64_u32 v[19:20], null, s20, v25, 0
	v_mad_u64_u32 v[29:30], null, s20, v33, 0
	v_add3_u32 v17, v17, v23, v13
	v_mov_b32_e32 v13, v18
	v_mad_u64_u32 v[22:23], null, s21, v22, v[3:4]
	v_mad_u64_u32 v[23:24], null, s20, v5, 0
	v_lshlrev_b64 v[15:16], 2, v[16:17]
	v_mad_u64_u32 v[17:18], null, s21, v4, v[6:7]
	v_lshlrev_b64 v[12:13], 2, v[12:13]
	v_mov_b32_e32 v6, v20
	v_mov_b32_e32 v3, v22
	v_add_co_u32 v18, s0, s8, v15
	v_add_co_ci_u32_e64 v16, s0, s9, v16, s0
	v_mov_b32_e32 v15, v17
	v_add_co_u32 v0, s0, v18, v0
	v_add_co_ci_u32_e64 v1, s0, v16, v1, s0
	v_lshlrev_b64 v[2:3], 2, v[2:3]
	v_add_co_u32 v16, s0, v0, v12
	v_add_co_ci_u32_e64 v17, s0, v1, v13, s0
	v_mad_u64_u32 v[12:13], null, s21, v25, v[6:7]
	v_mov_b32_e32 v6, v24
	v_lshlrev_b64 v[13:14], 2, v[14:15]
	v_add_nc_u32_e32 v15, 0x294, v21
	v_add_co_u32 v2, s0, v0, v2
	v_mad_u64_u32 v[24:25], null, s21, v5, v[6:7]
	v_mad_u64_u32 v[25:26], null, s20, v15, 0
	v_mov_b32_e32 v20, v12
	v_add_nc_u32_e32 v6, 0x108, v21
	v_add_co_ci_u32_e64 v3, s0, v1, v3, s0
	v_add_co_u32 v27, s0, v0, v13
	v_add_co_ci_u32_e64 v28, s0, v1, v14, s0
	v_lshlrev_b64 v[12:13], 2, v[19:20]
	v_mov_b32_e32 v14, v26
	v_mad_u64_u32 v[18:19], null, s20, v6, 0
	v_add_nc_u32_e32 v37, 0x344, v21
	s_mov_b32 s6, exec_lo
	v_mad_u64_u32 v[14:15], null, s21, v15, v[14:15]
	v_add_co_u32 v31, s0, v0, v12
	v_add_co_ci_u32_e64 v32, s0, v1, v13, s0
	v_mov_b32_e32 v13, v19
	v_add_nc_u32_e32 v12, 0x160, v21
	v_mov_b32_e32 v26, v14
	v_lshlrev_b64 v[19:20], 2, v[23:24]
	v_mad_u64_u32 v[13:14], null, s21, v6, v[13:14]
	v_mov_b32_e32 v14, v30
	v_mad_u64_u32 v[22:23], null, s20, v12, 0
	v_add_co_u32 v35, s0, v0, v19
	v_mad_u64_u32 v[14:15], null, s21, v33, v[14:15]
	v_mad_u64_u32 v[33:34], null, s20, v37, 0
	v_mov_b32_e32 v15, v23
	v_mov_b32_e32 v19, v13
	v_lshlrev_b64 v[23:24], 2, v[25:26]
	v_add_co_ci_u32_e64 v36, s0, v1, v20, s0
	v_mov_b32_e32 v30, v14
	v_mad_u64_u32 v[13:14], null, s21, v12, v[15:16]
	v_mov_b32_e32 v14, v34
	v_lshlrev_b64 v[18:19], 2, v[18:19]
	v_add_co_u32 v25, s0, v0, v23
	v_add_co_ci_u32_e64 v26, s0, v1, v24, s0
	v_mad_u64_u32 v[14:15], null, s21, v37, v[14:15]
	v_mov_b32_e32 v23, v13
	v_lshlrev_b64 v[29:30], 2, v[29:30]
	v_add_co_u32 v37, s0, v0, v18
	v_add_co_ci_u32_e64 v38, s0, v1, v19, s0
	v_mov_b32_e32 v34, v14
	v_lshlrev_b64 v[18:19], 2, v[22:23]
	v_add_co_u32 v29, s0, v0, v29
	v_add_co_ci_u32_e64 v30, s0, v1, v30, s0
	v_lshlrev_b64 v[13:14], 2, v[33:34]
	v_add_co_u32 v33, s0, v0, v18
	v_add_co_ci_u32_e64 v34, s0, v1, v19, s0
	v_mov_b32_e32 v22, 0
	v_add_co_u32 v39, s0, v0, v13
	v_add_co_ci_u32_e64 v40, s0, v1, v14, s0
	s_clause 0x9
	global_load_dword v17, v[16:17], off
	global_load_dword v13, v[2:3], off
	;; [unrolled: 1-line block ×10, first 2 shown]
                                        ; implicit-def: $vgpr26
	v_cmpx_gt_u32_e32 44, v21
	s_cbranch_execz .LBB0_14
; %bb.13:
	v_add_nc_u32_e32 v22, 0x1b8, v21
	v_add_nc_u32_e32 v30, 0x39c, v21
	v_mad_u64_u32 v[25:26], null, s20, v22, 0
	v_mad_u64_u32 v[27:28], null, s20, v30, 0
	v_mov_b32_e32 v2, v26
	v_mov_b32_e32 v20, v28
	s_waitcnt vmcnt(1)
	v_mad_u64_u32 v[28:29], null, s21, v22, v[2:3]
	v_mad_u64_u32 v[29:30], null, s21, v30, v[20:21]
	v_mov_b32_e32 v26, v28
	v_mov_b32_e32 v28, v29
	v_lshlrev_b64 v[25:26], 2, v[25:26]
	v_lshlrev_b64 v[27:28], 2, v[27:28]
	v_add_co_u32 v25, s0, v0, v25
	v_add_co_ci_u32_e64 v26, s0, v1, v26, s0
	v_add_co_u32 v0, s0, v0, v27
	v_add_co_ci_u32_e64 v1, s0, v1, v28, s0
	s_clause 0x1
	global_load_dword v22, v[25:26], off
	global_load_dword v26, v[0:1], off
.LBB0_14:
	s_or_b32 exec_lo, exec_lo, s6
	v_mov_b32_e32 v20, v21
.LBB0_15:
	s_or_b32 exec_lo, exec_lo, s1
	s_waitcnt vmcnt(8)
	v_pk_add_f16 v25, v17, v13 neg_lo:[0,1] neg_hi:[0,1]
	v_and_b32_e32 v1, 1, v7
	s_waitcnt vmcnt(0)
	v_pk_add_f16 v13, v22, v26 neg_lo:[0,1] neg_hi:[0,1]
	v_lshrrev_b32_e32 v7, 16, v17
	v_lshl_add_u32 v2, v21, 3, 0
	v_lshrrev_b32_e32 v26, 16, v25
	v_cmp_eq_u32_e64 s0, 1, v1
	v_fma_f16 v17, v17, 2.0, -v25
	v_lshl_add_u32 v0, v4, 3, 0
	v_pk_add_f16 v24, v18, v24 neg_lo:[0,1] neg_hi:[0,1]
	v_fma_f16 v7, v7, 2.0, -v26
	v_cndmask_b32_e64 v27, 0, 0x3c8, s0
	v_pk_add_f16 v23, v15, v23 neg_lo:[0,1] neg_hi:[0,1]
	v_lshl_add_u32 v1, v5, 3, 0
	v_pk_add_f16 v28, v14, v19 neg_lo:[0,1] neg_hi:[0,1]
	v_lshlrev_b32_e32 v26, 16, v7
	v_lshlrev_b32_e32 v27, 2, v27
	v_lshl_add_u32 v7, v6, 3, 0
	v_lshl_add_u32 v19, v12, 3, 0
	v_pk_add_f16 v16, v3, v16 neg_lo:[0,1] neg_hi:[0,1]
	v_or_b32_sdwa v26, v26, v17 dst_sel:DWORD dst_unused:UNUSED_PAD src0_sel:DWORD src1_sel:WORD_0
	v_add_nc_u32_e32 v29, v2, v27
	v_pk_fma_f16 v17, v22, 2.0, v13 op_sel_hi:[1,0,1] neg_lo:[0,0,1] neg_hi:[0,0,1]
	v_pk_fma_f16 v18, v18, 2.0, v24 op_sel_hi:[1,0,1] neg_lo:[0,0,1] neg_hi:[0,0,1]
	v_add_nc_u32_e32 v22, v0, v27
	v_cmp_gt_u32_e64 s0, 44, v21
	ds_write2_b32 v29, v26, v25 offset1:1
	v_pk_fma_f16 v25, v15, 2.0, v23 op_sel_hi:[1,0,1] neg_lo:[0,0,1] neg_hi:[0,0,1]
	v_add_nc_u32_e32 v15, 0x1b8, v21
	v_add_nc_u32_e32 v30, v1, v27
	;; [unrolled: 1-line block ×3, first 2 shown]
	v_pk_fma_f16 v14, v14, 2.0, v28 op_sel_hi:[1,0,1] neg_lo:[0,0,1] neg_hi:[0,0,1]
	v_add_nc_u32_e32 v29, v19, v27
	v_pk_fma_f16 v3, v3, 2.0, v16 op_sel_hi:[1,0,1] neg_lo:[0,0,1] neg_hi:[0,0,1]
	ds_write2_b32 v22, v18, v24 offset1:1
	ds_write2_b32 v30, v25, v23 offset1:1
	;; [unrolled: 1-line block ×4, first 2 shown]
	s_and_saveexec_b32 s1, s0
	s_cbranch_execz .LBB0_17
; %bb.16:
	v_lshlrev_b32_e32 v3, 3, v15
	v_add3_u32 v3, 0, v3, v27
	ds_write2_b32 v3, v17, v13 offset1:1
.LBB0_17:
	s_or_b32 exec_lo, exec_lo, s1
	v_lshlrev_b32_e32 v14, 2, v21
	v_lshlrev_b32_e32 v18, 2, v5
	;; [unrolled: 1-line block ×5, first 2 shown]
	v_sub_nc_u32_e32 v2, v2, v14
	v_sub_nc_u32_e32 v1, v1, v18
	v_add3_u32 v22, 0, v27, v14
	s_waitcnt lgkmcnt(0)
	v_sub_nc_u32_e32 v0, v0, v3
	v_add_nc_u32_e32 v16, v2, v27
	v_sub_nc_u32_e32 v2, v7, v23
	v_sub_nc_u32_e32 v7, v19, v24
	v_add_nc_u32_e32 v23, v1, v27
	v_add_nc_u32_e32 v24, v0, v27
	;; [unrolled: 1-line block ×6, first 2 shown]
	s_barrier
	buffer_gl0_inv
	ds_read_b32 v31, v22
	ds_read2_b32 v[2:3], v3 offset0:100 offset1:188
	ds_read2_b32 v[0:1], v1 offset0:148 offset1:236
	ds_read_b32 v28, v23
	ds_read_b32 v29, v26
	;; [unrolled: 1-line block ×4, first 2 shown]
	ds_read_b32 v18, v16 offset:3344
	v_lshlrev_b32_e32 v7, 1, v21
	v_lshlrev_b32_e32 v4, 1, v4
	;; [unrolled: 1-line block ×5, first 2 shown]
	v_lshrrev_b32_e32 v19, 16, v13
	s_and_saveexec_b32 s1, s0
	s_cbranch_execz .LBB0_19
; %bb.18:
	ds_read_b32 v13, v16 offset:3696
	ds_read_b32 v17, v16 offset:1760
	s_waitcnt lgkmcnt(1)
	v_lshrrev_b32_e32 v19, 16, v13
.LBB0_19:
	s_or_b32 exec_lo, exec_lo, s1
	v_and_b32_e32 v33, 1, v21
	s_waitcnt lgkmcnt(6)
	v_lshrrev_b32_e32 v35, 16, v2
	v_lshrrev_b32_e32 v36, 16, v31
	s_waitcnt lgkmcnt(0)
	v_lshrrev_b32_e32 v37, 16, v17
	v_lshlrev_b32_e32 v15, 1, v15
	v_lshlrev_b32_e32 v34, 2, v33
	v_and_or_b32 v38, 0xfc, v7, v33
	v_and_or_b32 v39, 0x1fc, v4, v33
	;; [unrolled: 1-line block ×4, first 2 shown]
	global_load_dword v34, v34, s[12:13]
	v_and_or_b32 v42, 0x3fc, v12, v33
	v_lshlrev_b32_e32 v38, 2, v38
	v_lshlrev_b32_e32 v39, 2, v39
	;; [unrolled: 1-line block ×5, first 2 shown]
	v_add3_u32 v38, 0, v38, v27
	v_add3_u32 v39, 0, v39, v27
	;; [unrolled: 1-line block ×5, first 2 shown]
	s_waitcnt vmcnt(0)
	s_barrier
	buffer_gl0_inv
	v_mul_f16_sdwa v44, v34, v2 dst_sel:DWORD dst_unused:UNUSED_PAD src0_sel:WORD_1 src1_sel:DWORD
	v_pk_mul_f16 v45, v34, v18 op_sel:[0,1]
	v_mul_f16_sdwa v43, v34, v35 dst_sel:DWORD dst_unused:UNUSED_PAD src0_sel:WORD_1 src1_sel:DWORD
	v_mul_f16_sdwa v46, v19, v34 dst_sel:DWORD dst_unused:UNUSED_PAD src0_sel:DWORD src1_sel:WORD_1
	v_mul_f16_sdwa v47, v13, v34 dst_sel:DWORD dst_unused:UNUSED_PAD src0_sel:DWORD src1_sel:WORD_1
	v_pk_mul_f16 v48, v34, v3 op_sel:[0,1]
	v_pk_mul_f16 v49, v34, v0 op_sel:[0,1]
	;; [unrolled: 1-line block ×3, first 2 shown]
	v_fmac_f16_e32 v44, v34, v35
	v_pk_fma_f16 v35, v34, v18, v45 op_sel:[0,0,1] op_sel_hi:[1,1,0] neg_lo:[0,0,1] neg_hi:[0,0,1]
	v_pk_fma_f16 v18, v34, v18, v45 op_sel:[0,0,1] op_sel_hi:[1,0,0]
	v_fma_f16 v2, v34, v2, -v43
	v_fma_f16 v13, v13, v34, -v46
	v_fmac_f16_e32 v47, v19, v34
	v_pk_fma_f16 v43, v34, v3, v48 op_sel:[0,0,1] op_sel_hi:[1,1,0] neg_lo:[0,0,1] neg_hi:[0,0,1]
	v_pk_fma_f16 v3, v34, v3, v48 op_sel:[0,0,1] op_sel_hi:[1,0,0]
	v_pk_fma_f16 v45, v34, v0, v49 op_sel:[0,0,1] op_sel_hi:[1,1,0] neg_lo:[0,0,1] neg_hi:[0,0,1]
	v_pk_fma_f16 v0, v34, v0, v49 op_sel:[0,0,1] op_sel_hi:[1,0,0]
	;; [unrolled: 2-line block ×3, first 2 shown]
	v_bfi_b32 v34, 0xffff, v35, v18
	v_sub_f16_e32 v35, v36, v44
	v_sub_f16_e32 v2, v31, v2
	v_bfi_b32 v3, 0xffff, v43, v3
	v_bfi_b32 v0, 0xffff, v45, v0
	;; [unrolled: 1-line block ×3, first 2 shown]
	v_fma_f16 v36, v36, 2.0, -v35
	v_sub_f16_e32 v18, v17, v13
	v_sub_f16_e32 v19, v37, v47
	v_fma_f16 v31, v31, 2.0, -v2
	v_pk_add_f16 v3, v32, v3 neg_lo:[0,1] neg_hi:[0,1]
	v_lshlrev_b32_e32 v36, 16, v36
	v_pk_add_f16 v0, v28, v0 neg_lo:[0,1] neg_hi:[0,1]
	v_pk_add_f16 v1, v29, v1 neg_lo:[0,1] neg_hi:[0,1]
	;; [unrolled: 1-line block ×3, first 2 shown]
	v_fma_f16 v13, v17, 2.0, -v18
	v_fma_f16 v17, v37, 2.0, -v19
	v_pack_b32_f16 v2, v2, v35
	v_or_b32_sdwa v31, v36, v31 dst_sel:DWORD dst_unused:UNUSED_PAD src0_sel:DWORD src1_sel:WORD_0
	v_pk_fma_f16 v32, v32, 2.0, v3 op_sel_hi:[1,0,1] neg_lo:[0,0,1] neg_hi:[0,0,1]
	v_pk_fma_f16 v28, v28, 2.0, v0 op_sel_hi:[1,0,1] neg_lo:[0,0,1] neg_hi:[0,0,1]
	;; [unrolled: 1-line block ×4, first 2 shown]
	ds_write2_b32 v38, v31, v2 offset1:2
	ds_write2_b32 v39, v32, v3 offset1:2
	ds_write2_b32 v40, v28, v0 offset1:2
	ds_write2_b32 v41, v29, v1 offset1:2
	ds_write2_b32 v42, v30, v34 offset1:2
	s_and_saveexec_b32 s1, s0
	s_cbranch_execz .LBB0_21
; %bb.20:
	v_and_or_b32 v0, 0x3fc, v15, v33
	v_perm_b32 v1, v17, v13, 0x5040100
	v_perm_b32 v2, v19, v18, 0x5040100
	v_lshlrev_b32_e32 v0, 2, v0
	v_add3_u32 v0, 0, v0, v27
	ds_write2_b32 v0, v1, v2 offset1:2
.LBB0_21:
	s_or_b32 exec_lo, exec_lo, s1
	v_add_nc_u32_e32 v0, 0x600, v16
	v_add_nc_u32_e32 v1, 0x800, v16
	s_waitcnt lgkmcnt(0)
	s_barrier
	buffer_gl0_inv
	ds_read_b32 v32, v22
	ds_read2_b32 v[2:3], v0 offset0:100 offset1:188
	ds_read2_b32 v[0:1], v1 offset0:148 offset1:236
	ds_read_b32 v28, v23
	ds_read_b32 v29, v26
	;; [unrolled: 1-line block ×4, first 2 shown]
	ds_read_b32 v33, v16 offset:3344
	s_and_saveexec_b32 s1, s0
	s_cbranch_execz .LBB0_23
; %bb.22:
	ds_read_b32 v13, v16 offset:1760
	ds_read_b32 v18, v16 offset:3696
	s_waitcnt lgkmcnt(1)
	v_lshrrev_b32_e32 v17, 16, v13
	s_waitcnt lgkmcnt(0)
	v_lshrrev_b32_e32 v19, 16, v18
.LBB0_23:
	s_or_b32 exec_lo, exec_lo, s1
	v_and_b32_e32 v16, 3, v21
	s_waitcnt lgkmcnt(7)
	v_lshrrev_b32_e32 v35, 16, v32
	v_lshlrev_b32_e32 v34, 2, v16
	v_and_or_b32 v7, 0xf8, v7, v16
	v_and_or_b32 v4, 0x1f8, v4, v16
	;; [unrolled: 1-line block ×4, first 2 shown]
	global_load_dword v34, v34, s[12:13] offset:8
	v_and_or_b32 v12, 0x3f8, v12, v16
	v_lshlrev_b32_e32 v7, 2, v7
	v_lshlrev_b32_e32 v4, 2, v4
	;; [unrolled: 1-line block ×5, first 2 shown]
	v_add3_u32 v7, 0, v7, v27
	v_add3_u32 v4, 0, v4, v27
	;; [unrolled: 1-line block ×5, first 2 shown]
	s_waitcnt vmcnt(0) lgkmcnt(0)
	s_barrier
	buffer_gl0_inv
	v_pk_mul_f16 v36, v34, v2 op_sel:[0,1]
	v_pk_mul_f16 v38, v34, v0 op_sel:[0,1]
	;; [unrolled: 1-line block ×3, first 2 shown]
	v_pk_fma_f16 v37, v34, v2, v36 op_sel:[0,0,1] op_sel_hi:[1,1,0] neg_lo:[0,0,1] neg_hi:[0,0,1]
	v_pk_fma_f16 v2, v34, v2, v36 op_sel:[0,0,1] op_sel_hi:[1,0,0]
	v_pk_mul_f16 v36, v34, v33 op_sel:[0,1]
	v_bfi_b32 v2, 0xffff, v37, v2
	v_pk_mul_f16 v37, v34, v3 op_sel:[0,1]
	v_pk_fma_f16 v40, v34, v33, v36 op_sel:[0,0,1] op_sel_hi:[1,1,0] neg_lo:[0,0,1] neg_hi:[0,0,1]
	v_pk_fma_f16 v33, v34, v33, v36 op_sel:[0,0,1] op_sel_hi:[1,0,0]
	v_pk_add_f16 v2, v32, v2 neg_lo:[0,1] neg_hi:[0,1]
	v_pk_fma_f16 v36, v34, v3, v37 op_sel:[0,0,1] op_sel_hi:[1,1,0] neg_lo:[0,0,1] neg_hi:[0,0,1]
	v_pk_fma_f16 v3, v34, v3, v37 op_sel:[0,0,1] op_sel_hi:[1,0,0]
	v_pk_fma_f16 v37, v34, v0, v38 op_sel:[0,0,1] op_sel_hi:[1,1,0] neg_lo:[0,0,1] neg_hi:[0,0,1]
	v_pk_fma_f16 v0, v34, v0, v38 op_sel:[0,0,1] op_sel_hi:[1,0,0]
	v_lshrrev_b32_e32 v41, 16, v2
	v_pk_fma_f16 v38, v34, v1, v39 op_sel:[0,0,1] op_sel_hi:[1,1,0] neg_lo:[0,0,1] neg_hi:[0,0,1]
	v_pk_fma_f16 v1, v34, v1, v39 op_sel:[0,0,1] op_sel_hi:[1,0,0]
	v_bfi_b32 v3, 0xffff, v36, v3
	v_bfi_b32 v0, 0xffff, v37, v0
	v_fma_f16 v35, v35, 2.0, -v41
	v_bfi_b32 v33, 0xffff, v40, v33
	v_bfi_b32 v1, 0xffff, v38, v1
	v_fma_f16 v32, v32, 2.0, -v2
	v_pk_add_f16 v3, v31, v3 neg_lo:[0,1] neg_hi:[0,1]
	v_lshlrev_b32_e32 v35, 16, v35
	v_pk_add_f16 v0, v28, v0 neg_lo:[0,1] neg_hi:[0,1]
	v_pk_add_f16 v1, v29, v1 neg_lo:[0,1] neg_hi:[0,1]
	;; [unrolled: 1-line block ×3, first 2 shown]
	v_pk_fma_f16 v31, v31, 2.0, v3 op_sel_hi:[1,0,1] neg_lo:[0,0,1] neg_hi:[0,0,1]
	v_or_b32_sdwa v32, v35, v32 dst_sel:DWORD dst_unused:UNUSED_PAD src0_sel:DWORD src1_sel:WORD_0
	v_pk_fma_f16 v28, v28, 2.0, v0 op_sel_hi:[1,0,1] neg_lo:[0,0,1] neg_hi:[0,0,1]
	v_pk_fma_f16 v29, v29, 2.0, v1 op_sel_hi:[1,0,1] neg_lo:[0,0,1] neg_hi:[0,0,1]
	;; [unrolled: 1-line block ×3, first 2 shown]
	ds_write2_b32 v7, v32, v2 offset1:4
	ds_write2_b32 v4, v31, v3 offset1:4
	;; [unrolled: 1-line block ×5, first 2 shown]
	s_and_saveexec_b32 s1, s0
	s_cbranch_execz .LBB0_25
; %bb.24:
	v_mul_f16_sdwa v0, v19, v34 dst_sel:DWORD dst_unused:UNUSED_PAD src0_sel:DWORD src1_sel:WORD_1
	v_mul_f16_sdwa v1, v18, v34 dst_sel:DWORD dst_unused:UNUSED_PAD src0_sel:DWORD src1_sel:WORD_1
	v_and_or_b32 v2, 0x3f8, v15, v16
	v_fma_f16 v0, v18, v34, -v0
	v_fmac_f16_e32 v1, v19, v34
	v_lshlrev_b32_e32 v2, 2, v2
	v_sub_f16_e32 v0, v13, v0
	v_sub_f16_e32 v1, v17, v1
	v_add3_u32 v2, 0, v2, v27
	v_fma_f16 v3, v13, 2.0, -v0
	v_fma_f16 v4, v17, 2.0, -v1
	v_pack_b32_f16 v0, v0, v1
	v_pack_b32_f16 v3, v3, v4
	ds_write2_b32 v2, v3, v0 offset1:4
.LBB0_25:
	s_or_b32 exec_lo, exec_lo, s1
	v_and_b32_e32 v31, 7, v21
	s_waitcnt lgkmcnt(0)
	s_barrier
	buffer_gl0_inv
	v_add3_u32 v36, 0, v14, v27
	v_mul_u32_u24_e32 v0, 10, v31
	v_lshrrev_b32_e32 v14, 3, v21
	v_add_nc_u32_e32 v28, 0x600, v36
	v_lshlrev_b32_e32 v12, 2, v0
	v_add_nc_u32_e32 v29, 0x800, v36
	v_add_nc_u32_e32 v30, 0xc00, v36
	v_mul_u32_u24_e32 v37, 0x58, v14
	s_clause 0x2
	global_load_dwordx4 v[0:3], v12, s[12:13] offset:24
	global_load_dwordx4 v[4:7], v12, s[12:13] offset:40
	global_load_dwordx2 v[12:13], v12, s[12:13] offset:56
	ds_read_b32 v35, v24
	ds_read_b32 v34, v23
	;; [unrolled: 1-line block ×4, first 2 shown]
	ds_read2_b32 v[18:19], v28 offset0:56 offset1:144
	ds_read2_b32 v[16:17], v29 offset0:104 offset1:192
	;; [unrolled: 1-line block ×3, first 2 shown]
	v_or_b32_e32 v37, v37, v31
	ds_read_u16 v36, v36 offset:1762
	ds_read_b32 v31, v22
	s_waitcnt vmcnt(0) lgkmcnt(0)
	s_barrier
	buffer_gl0_inv
	v_lshlrev_b32_e32 v37, 2, v37
	v_add3_u32 v27, 0, v37, v27
	v_lshrrev_b32_e32 v38, 16, v35
	v_lshrrev_b32_e32 v39, 16, v34
	;; [unrolled: 1-line block ×9, first 2 shown]
	v_mul_f16_sdwa v46, v0, v38 dst_sel:DWORD dst_unused:UNUSED_PAD src0_sel:WORD_1 src1_sel:DWORD
	v_mul_f16_sdwa v47, v0, v35 dst_sel:DWORD dst_unused:UNUSED_PAD src0_sel:WORD_1 src1_sel:DWORD
	;; [unrolled: 1-line block ×8, first 2 shown]
	v_mul_f16_sdwa v54, v36, v4 dst_sel:DWORD dst_unused:UNUSED_PAD src0_sel:DWORD src1_sel:WORD_1
	v_mul_f16_sdwa v55, v4, v18 dst_sel:DWORD dst_unused:UNUSED_PAD src0_sel:WORD_1 src1_sel:DWORD
	v_mul_f16_sdwa v56, v37, v5 dst_sel:DWORD dst_unused:UNUSED_PAD src0_sel:DWORD src1_sel:WORD_1
	v_mul_f16_sdwa v57, v19, v5 dst_sel:DWORD dst_unused:UNUSED_PAD src0_sel:DWORD src1_sel:WORD_1
	;; [unrolled: 1-line block ×7, first 2 shown]
	v_fma_f16 v35, v0, v35, -v46
	v_fmac_f16_e32 v47, v0, v38
	v_mul_f16_sdwa v64, v45, v13 dst_sel:DWORD dst_unused:UNUSED_PAD src0_sel:DWORD src1_sel:WORD_1
	v_mul_f16_sdwa v65, v15, v13 dst_sel:DWORD dst_unused:UNUSED_PAD src0_sel:DWORD src1_sel:WORD_1
	v_fma_f16 v0, v1, v34, -v48
	v_fmac_f16_e32 v49, v1, v39
	v_fma_f16 v1, v2, v33, -v50
	v_fmac_f16_e32 v51, v2, v40
	;; [unrolled: 2-line block ×7, first 2 shown]
	v_fma_f16 v7, v14, v12, -v62
	v_add_f16_e32 v19, v35, v31
	v_add_f16_sdwa v32, v47, v31 dst_sel:DWORD dst_unused:UNUSED_PAD src0_sel:DWORD src1_sel:WORD_1
	v_mul_f16_sdwa v63, v14, v12 dst_sel:DWORD dst_unused:UNUSED_PAD src0_sel:DWORD src1_sel:WORD_1
	v_fma_f16 v15, v15, v13, -v64
	v_fmac_f16_e32 v65, v45, v13
	v_add_f16_e32 v17, v0, v7
	v_sub_f16_e32 v33, v0, v7
	v_add_f16_e32 v0, v19, v0
	v_add_f16_e32 v19, v32, v49
	v_fmac_f16_e32 v63, v44, v12
	v_sub_f16_e32 v13, v47, v65
	v_sub_f16_e32 v14, v35, v15
	v_add_f16_e32 v36, v1, v6
	v_sub_f16_e32 v37, v1, v6
	v_add_f16_e32 v0, v0, v1
	v_add_f16_e32 v1, v19, v51
	;; [unrolled: 1-line block ×4, first 2 shown]
	v_sub_f16_e32 v18, v49, v63
	v_sub_f16_e32 v35, v51, v61
	;; [unrolled: 1-line block ×6, first 2 shown]
	v_mul_f16_e32 v47, 0xb853, v13
	v_mul_f16_e32 v48, 0xb853, v14
	;; [unrolled: 1-line block ×10, first 2 shown]
	v_add_f16_e32 v0, v0, v2
	v_add_f16_e32 v1, v1, v53
	;; [unrolled: 1-line block ×8, first 2 shown]
	v_mul_f16_e32 v62, 0xbb47, v18
	v_mul_f16_e32 v64, 0xba0c, v18
	v_mul_f16_e32 v66, 0x3482, v18
	v_mul_f16_e32 v67, 0x3beb, v18
	v_mul_f16_e32 v18, 0x3853, v18
	v_mul_f16_e32 v32, 0xbb47, v33
	v_mul_f16_e32 v49, 0xba0c, v33
	v_mul_f16_e32 v68, 0x3482, v33
	v_mul_f16_e32 v69, 0x3beb, v33
	v_mul_f16_e32 v33, 0x3853, v33
	v_mul_f16_e32 v70, 0xbbeb, v35
	v_mul_f16_e32 v71, 0x3482, v35
	v_mul_f16_e32 v72, 0x3b47, v35
	v_mul_f16_e32 v73, 0xb853, v35
	v_mul_f16_e32 v35, 0xba0c, v35
	v_mul_f16_e32 v74, 0xbbeb, v37
	v_mul_f16_e32 v75, 0x3482, v37
	v_mul_f16_e32 v76, 0x3b47, v37
	v_mul_f16_e32 v77, 0xb853, v37
	v_mul_f16_e32 v37, 0xba0c, v37
	v_mul_f16_e32 v78, 0xba0c, v39
	v_mul_f16_e32 v79, 0x3beb, v39
	v_mul_f16_e32 v80, 0xb853, v39
	v_mul_f16_e32 v81, 0xb482, v39
	v_mul_f16_e32 v39, 0x3b47, v39
	v_mul_f16_e32 v82, 0xba0c, v41
	v_mul_f16_e32 v83, 0x3beb, v41
	v_mul_f16_e32 v84, 0xb853, v41
	v_mul_f16_e32 v85, 0xb482, v41
	v_mul_f16_e32 v41, 0x3b47, v41
	v_mul_f16_e32 v86, 0xb482, v43
	v_mul_f16_e32 v87, 0x3853, v43
	v_mul_f16_e32 v88, 0xba0c, v43
	v_mul_f16_e32 v89, 0x3b47, v43
	v_mul_f16_e32 v43, 0xbbeb, v43
	v_mul_f16_e32 v90, 0xb482, v45
	v_mul_f16_e32 v91, 0x3853, v45
	v_mul_f16_e32 v92, 0xba0c, v45
	v_mul_f16_e32 v93, 0x3b47, v45
	v_mul_f16_e32 v45, 0xbbeb, v45
	v_fma_f16 v94, v12, 0x3abb, -v47
	v_fmamk_f16 v95, v16, 0x3abb, v48
	v_fmac_f16_e32 v47, 0x3abb, v12
	v_fma_f16 v48, v16, 0x3abb, -v48
	v_fma_f16 v96, v12, 0x36a6, -v50
	v_fmamk_f16 v97, v16, 0x36a6, v52
	v_fmac_f16_e32 v50, 0x36a6, v12
	v_fma_f16 v52, v16, 0x36a6, -v52
	;; [unrolled: 4-line block ×5, first 2 shown]
	v_add_f16_e32 v0, v0, v3
	v_add_f16_e32 v1, v1, v55
	v_fma_f16 v14, v17, 0x36a6, -v62
	v_fmac_f16_e32 v62, 0x36a6, v17
	v_fma_f16 v16, v17, 0xb93d, -v64
	v_fmac_f16_e32 v64, 0xb93d, v17
	v_fma_f16 v104, v17, 0xbbad, -v66
	v_fmac_f16_e32 v66, 0xbbad, v17
	v_fma_f16 v105, v17, 0xb08e, -v67
	v_fmac_f16_e32 v67, 0xb08e, v17
	v_fma_f16 v106, v17, 0x3abb, -v18
	v_fmac_f16_e32 v18, 0x3abb, v17
	v_fmamk_f16 v17, v34, 0x36a6, v32
	v_fma_f16 v32, v34, 0x36a6, -v32
	v_fmamk_f16 v107, v34, 0xb93d, v49
	v_fma_f16 v49, v34, 0xb93d, -v49
	v_fmamk_f16 v108, v34, 0xbbad, v68
	v_fma_f16 v68, v34, 0xbbad, -v68
	v_fmamk_f16 v109, v34, 0xb08e, v69
	v_fma_f16 v69, v34, 0xb08e, -v69
	v_fmamk_f16 v110, v34, 0x3abb, v33
	v_fma_f16 v33, v34, 0x3abb, -v33
	v_fma_f16 v34, v36, 0xb08e, -v70
	v_fmac_f16_e32 v70, 0xb08e, v36
	v_fma_f16 v111, v36, 0xbbad, -v71
	v_fmac_f16_e32 v71, 0xbbad, v36
	v_fma_f16 v112, v36, 0x36a6, -v72
	v_fmac_f16_e32 v72, 0x36a6, v36
	v_fma_f16 v113, v36, 0x3abb, -v73
	v_fmac_f16_e32 v73, 0x3abb, v36
	v_fma_f16 v114, v36, 0xb93d, -v35
	v_fmac_f16_e32 v35, 0xb93d, v36
	v_fmamk_f16 v19, v38, 0xb08e, v74
	v_fma_f16 v36, v38, 0xb08e, -v74
	v_fmamk_f16 v51, v38, 0xbbad, v75
	v_fma_f16 v74, v38, 0xbbad, -v75
	v_fmamk_f16 v75, v38, 0x36a6, v76
	v_fma_f16 v76, v38, 0x36a6, -v76
	v_fmamk_f16 v115, v38, 0x3abb, v77
	v_fma_f16 v77, v38, 0x3abb, -v77
	v_fmamk_f16 v116, v38, 0xb93d, v37
	v_fma_f16 v37, v38, 0xb93d, -v37
	;; [unrolled: 20-line block ×4, first 2 shown]
	v_add_f16_e32 v2, v94, v31
	v_add_f16_sdwa v46, v95, v31 dst_sel:DWORD dst_unused:UNUSED_PAD src0_sel:DWORD src1_sel:WORD_1
	v_add_f16_e32 v47, v47, v31
	v_add_f16_sdwa v48, v48, v31 dst_sel:DWORD dst_unused:UNUSED_PAD src0_sel:DWORD src1_sel:WORD_1
	;; [unrolled: 2-line block ×10, first 2 shown]
	v_add_f16_e32 v0, v0, v4
	v_add_f16_e32 v1, v1, v57
	;; [unrolled: 1-line block ×89, first 2 shown]
	v_add_f16_sdwa v1, v1, v65 dst_sel:WORD_1 dst_unused:UNUSED_PAD src0_sel:DWORD src1_sel:DWORD
	v_pack_b32_f16 v2, v2, v3
	v_pack_b32_f16 v3, v6, v14
	;; [unrolled: 1-line block ×10, first 2 shown]
	v_or_b32_sdwa v0, v1, v0 dst_sel:DWORD dst_unused:UNUSED_PAD src0_sel:DWORD src1_sel:WORD_0
	ds_write2_b32 v27, v3, v6 offset0:16 offset1:24
	ds_write2_b32 v27, v7, v14 offset0:32 offset1:40
	;; [unrolled: 1-line block ×4, first 2 shown]
	ds_write_b32 v27, v4 offset:320
	ds_write2_b32 v27, v0, v2 offset1:8
	s_waitcnt lgkmcnt(0)
	s_barrier
	buffer_gl0_inv
	s_and_saveexec_b32 s0, vcc_lo
	s_cbranch_execz .LBB0_27
; %bb.26:
	v_mul_u32_u24_e32 v0, 10, v21
	v_mul_lo_u32 v31, s5, v10
	v_mul_lo_u32 v32, s4, v11
	v_mad_u64_u32 v[10:11], null, s4, v10, 0
	v_lshlrev_b32_e32 v6, 2, v0
	v_add_nc_u32_e32 v33, 0x58, v20
	v_lshlrev_b64 v[7:8], 2, v[8:9]
	v_add_nc_u32_e32 v38, 0xb0, v20
	v_add_nc_u32_e32 v39, 0x108, v20
	s_clause 0x2
	global_load_dwordx2 v[4:5], v6, s[12:13] offset:376
	global_load_dwordx4 v[0:3], v6, s[12:13] offset:344
	global_load_dwordx4 v[12:15], v6, s[12:13] offset:360
	ds_read2_b32 v[16:17], v30 offset0:24 offset1:112
	ds_read_b32 v34, v26
	ds_read_b32 v35, v25
	;; [unrolled: 1-line block ×5, first 2 shown]
	ds_read2_b32 v[18:19], v29 offset0:104 offset1:192
	ds_read2_b32 v[21:22], v28 offset0:56 offset1:144
	v_mad_u64_u32 v[23:24], null, s2, v20, 0
	v_mad_u64_u32 v[25:26], null, s2, v33, 0
	v_add3_u32 v11, v11, v32, v31
	v_mad_u64_u32 v[27:28], null, s2, v38, 0
	v_add_nc_u32_e32 v40, 0x160, v20
	v_mov_b32_e32 v9, v24
	v_mad_u64_u32 v[29:30], null, s3, v20, v[9:10]
	v_lshlrev_b64 v[10:11], 2, v[10:11]
	v_mov_b32_e32 v9, v26
	v_mad_u64_u32 v[30:31], null, s2, v39, 0
	v_mad_u64_u32 v[32:33], null, s3, v33, v[9:10]
	v_mov_b32_e32 v9, v28
	v_mov_b32_e32 v24, v29
	v_add_co_u32 v28, vcc_lo, s10, v10
	v_add_co_ci_u32_e32 v29, vcc_lo, s11, v11, vcc_lo
	v_mov_b32_e32 v26, v32
	v_lshlrev_b64 v[10:11], 2, v[23:24]
	v_add_co_u32 v23, vcc_lo, v28, v7
	v_add_co_ci_u32_e32 v24, vcc_lo, v29, v8, vcc_lo
	v_lshlrev_b64 v[7:8], 2, v[25:26]
	v_add_co_u32 v10, vcc_lo, v23, v10
	v_add_co_ci_u32_e32 v11, vcc_lo, v24, v11, vcc_lo
	s_waitcnt vmcnt(2)
	v_lshrrev_b32_e32 v26, 16, v5
	s_waitcnt lgkmcnt(7)
	v_mul_f16_sdwa v28, v5, v17 dst_sel:DWORD dst_unused:UNUSED_PAD src0_sel:DWORD src1_sel:WORD_1
	s_waitcnt vmcnt(1)
	v_lshrrev_b32_e32 v29, 16, v0
	s_waitcnt lgkmcnt(3)
	v_mul_f16_sdwa v42, v0, v37 dst_sel:DWORD dst_unused:UNUSED_PAD src0_sel:DWORD src1_sel:WORD_1
	v_lshrrev_b32_e32 v32, 16, v1
	v_lshrrev_b32_e32 v33, 16, v2
	v_mul_f16_sdwa v44, v1, v36 dst_sel:DWORD dst_unused:UNUSED_PAD src0_sel:DWORD src1_sel:WORD_1
	s_waitcnt vmcnt(0)
	v_lshrrev_b32_e32 v48, 16, v15
	s_waitcnt lgkmcnt(1)
	v_mul_f16_sdwa v49, v15, v19 dst_sel:DWORD dst_unused:UNUSED_PAD src0_sel:DWORD src1_sel:WORD_1
	v_mul_f16_sdwa v50, v2, v34 dst_sel:DWORD dst_unused:UNUSED_PAD src0_sel:DWORD src1_sel:WORD_1
	v_fmac_f16_e32 v28, v26, v17
	v_fmac_f16_e32 v42, v29, v37
	v_mul_f16_sdwa v29, v29, v37 dst_sel:DWORD dst_unused:UNUSED_PAD src0_sel:DWORD src1_sel:WORD_1
	v_mul_f16_sdwa v26, v26, v17 dst_sel:DWORD dst_unused:UNUSED_PAD src0_sel:DWORD src1_sel:WORD_1
	v_lshrrev_b32_e32 v25, 16, v4
	v_mul_f16_sdwa v43, v4, v16 dst_sel:DWORD dst_unused:UNUSED_PAD src0_sel:DWORD src1_sel:WORD_1
	v_fmac_f16_e32 v44, v32, v36
	v_mul_f16_sdwa v32, v32, v36 dst_sel:DWORD dst_unused:UNUSED_PAD src0_sel:DWORD src1_sel:WORD_1
	v_fmac_f16_e32 v49, v48, v19
	v_fmac_f16_e32 v50, v33, v34
	v_mul_f16_sdwa v33, v33, v34 dst_sel:DWORD dst_unused:UNUSED_PAD src0_sel:DWORD src1_sel:WORD_1
	v_mul_f16_sdwa v48, v48, v19 dst_sel:DWORD dst_unused:UNUSED_PAD src0_sel:DWORD src1_sel:WORD_1
	v_fma_f16 v0, v0, v37, -v29
	v_fma_f16 v5, v17, v5, -v26
	v_lshrrev_b32_e32 v41, 16, v3
	v_lshrrev_b32_e32 v46, 16, v13
	v_mul_f16_sdwa v52, v3, v35 dst_sel:DWORD dst_unused:UNUSED_PAD src0_sel:DWORD src1_sel:WORD_1
	s_waitcnt lgkmcnt(0)
	v_mul_f16_sdwa v53, v13, v22 dst_sel:DWORD dst_unused:UNUSED_PAD src0_sel:DWORD src1_sel:WORD_1
	v_fmac_f16_e32 v43, v25, v16
	v_mul_f16_sdwa v25, v25, v16 dst_sel:DWORD dst_unused:UNUSED_PAD src0_sel:DWORD src1_sel:WORD_1
	v_add_f16_e32 v55, v28, v42
	v_fma_f16 v1, v1, v36, -v32
	v_fma_f16 v2, v2, v34, -v33
	;; [unrolled: 1-line block ×3, first 2 shown]
	v_add_f16_sdwa v32, v42, v6 dst_sel:DWORD dst_unused:UNUSED_PAD src0_sel:DWORD src1_sel:WORD_1
	v_sub_f16_e32 v34, v0, v5
	v_add_f16_e32 v48, v5, v0
	v_add_f16_e32 v0, v0, v6
	v_lshrrev_b32_e32 v45, 16, v12
	v_lshrrev_b32_e32 v47, 16, v14
	v_mul_f16_sdwa v51, v14, v18 dst_sel:DWORD dst_unused:UNUSED_PAD src0_sel:DWORD src1_sel:WORD_1
	v_mul_f16_sdwa v54, v12, v21 dst_sel:DWORD dst_unused:UNUSED_PAD src0_sel:DWORD src1_sel:WORD_1
	v_fmac_f16_e32 v52, v41, v35
	v_mul_f16_sdwa v41, v41, v35 dst_sel:DWORD dst_unused:UNUSED_PAD src0_sel:DWORD src1_sel:WORD_1
	v_fmac_f16_e32 v53, v46, v22
	v_mul_f16_sdwa v46, v46, v22 dst_sel:DWORD dst_unused:UNUSED_PAD src0_sel:DWORD src1_sel:WORD_1
	v_add_f16_e32 v17, v43, v44
	v_fma_f16 v4, v16, v4, -v25
	v_mul_f16_e32 v33, 0x3abb, v55
	v_add_f16_e32 v32, v32, v44
	v_add_f16_e32 v0, v0, v1
	v_fmac_f16_e32 v51, v47, v18
	v_mul_f16_sdwa v47, v47, v18 dst_sel:DWORD dst_unused:UNUSED_PAD src0_sel:DWORD src1_sel:WORD_1
	v_fmac_f16_e32 v54, v45, v21
	v_mul_f16_sdwa v45, v45, v21 dst_sel:DWORD dst_unused:UNUSED_PAD src0_sel:DWORD src1_sel:WORD_1
	v_add_f16_e32 v16, v49, v50
	v_fma_f16 v3, v3, v35, -v41
	v_fma_f16 v13, v22, v13, -v46
	v_sub_f16_e32 v22, v44, v43
	v_mul_f16_e32 v35, 0x36a6, v17
	v_sub_f16_e32 v36, v1, v4
	v_fmamk_f16 v44, v34, 0x3853, v33
	v_add_f16_e32 v32, v32, v50
	v_add_f16_e32 v0, v0, v2
	;; [unrolled: 1-line block ×3, first 2 shown]
	v_fma_f16 v14, v18, v14, -v47
	v_fma_f16 v12, v12, v21, -v45
	v_sub_f16_e32 v21, v42, v28
	v_mul_f16_e32 v37, 0xb08e, v16
	v_sub_f16_e32 v41, v2, v15
	v_add_f16_e32 v57, v4, v1
	v_fmamk_f16 v95, v36, 0x3b47, v35
	v_fmac_f16_e32 v33, 0xb853, v34
	v_add_f16_sdwa v1, v44, v6 dst_sel:DWORD dst_unused:UNUSED_PAD src0_sel:DWORD src1_sel:WORD_1
	v_add_f16_e32 v32, v32, v52
	v_add_f16_e32 v0, v0, v3
	;; [unrolled: 1-line block ×3, first 2 shown]
	v_mul_f16_e32 v42, 0xb93d, v19
	v_sub_f16_e32 v45, v3, v14
	v_mul_f16_e32 v56, 0xb853, v21
	v_mul_f16_e32 v65, 0x36a6, v55
	;; [unrolled: 1-line block ×13, first 2 shown]
	v_fmamk_f16 v96, v41, 0x3beb, v37
	v_fmac_f16_e32 v35, 0xbb47, v36
	v_add_f16_sdwa v33, v33, v6 dst_sel:DWORD dst_unused:UNUSED_PAD src0_sel:DWORD src1_sel:WORD_1
	v_add_f16_e32 v1, v1, v95
	v_add_f16_e32 v32, v32, v54
	;; [unrolled: 1-line block ×3, first 2 shown]
	v_sub_f16_e32 v25, v50, v49
	v_mul_f16_e32 v46, 0xbbad, v18
	v_sub_f16_e32 v47, v12, v13
	v_mul_f16_e32 v58, 0xbb47, v22
	v_mul_f16_e32 v67, 0xbbad, v16
	;; [unrolled: 1-line block ×9, first 2 shown]
	v_fmamk_f16 v97, v45, 0x3a0c, v42
	v_fmamk_f16 v99, v48, 0x3abb, v56
	;; [unrolled: 1-line block ×7, first 2 shown]
	v_fmac_f16_e32 v55, 0xb482, v34
	v_fmac_f16_e32 v17, 0x3853, v36
	;; [unrolled: 1-line block ×5, first 2 shown]
	v_fmamk_f16 v36, v48, 0xbbad, v21
	v_fmac_f16_e32 v37, 0xbbeb, v41
	v_fma_f16 v21, v48, 0xbbad, -v21
	v_add_f16_e32 v33, v33, v35
	v_add_f16_e32 v1, v1, v96
	;; [unrolled: 1-line block ×4, first 2 shown]
	v_sub_f16_e32 v26, v52, v51
	v_sub_f16_e32 v29, v54, v53
	v_add_f16_e32 v59, v15, v2
	v_mul_f16_e32 v60, 0xbbeb, v25
	v_mul_f16_e32 v68, 0xb08e, v19
	;; [unrolled: 1-line block ×9, first 2 shown]
	v_fmamk_f16 v98, v47, 0x3482, v46
	v_fmamk_f16 v100, v57, 0x36a6, v58
	;; [unrolled: 1-line block ×7, first 2 shown]
	v_fmac_f16_e32 v65, 0xbb47, v34
	v_fmac_f16_e32 v16, 0xba0c, v41
	;; [unrolled: 1-line block ×5, first 2 shown]
	v_fmamk_f16 v41, v57, 0x3abb, v22
	v_fmac_f16_e32 v42, 0xba0c, v45
	v_fma_f16 v22, v57, 0x3abb, -v22
	v_add_f16_e32 v44, v99, v6
	v_add_f16_sdwa v55, v55, v6 dst_sel:DWORD dst_unused:UNUSED_PAD src0_sel:DWORD src1_sel:WORD_1
	v_add_f16_e32 v21, v21, v6
	v_add_f16_e32 v33, v33, v37
	;; [unrolled: 1-line block ×6, first 2 shown]
	v_mul_f16_e32 v62, 0xba0c, v26
	v_add_f16_e32 v63, v13, v12
	v_mul_f16_e32 v64, 0xb482, v29
	v_mul_f16_e32 v69, 0x3abb, v18
	;; [unrolled: 1-line block ×13, first 2 shown]
	v_fmamk_f16 v109, v48, 0x36a6, v70
	v_fmamk_f16 v114, v34, 0x3beb, v75
	;; [unrolled: 1-line block ×5, first 2 shown]
	v_fmac_f16_e32 v85, 0xba0c, v34
	v_fmac_f16_e32 v75, 0xbbeb, v34
	v_fma_f16 v90, v48, 0xb93d, -v90
	v_fma_f16 v80, v48, 0xb08e, -v80
	;; [unrolled: 1-line block ×4, first 2 shown]
	v_fmamk_f16 v101, v59, 0xb08e, v60
	v_fmamk_f16 v107, v45, 0xbbeb, v68
	;; [unrolled: 1-line block ×5, first 2 shown]
	v_fmac_f16_e32 v19, 0x3b47, v45
	v_fmac_f16_e32 v88, 0xb482, v45
	;; [unrolled: 1-line block ×4, first 2 shown]
	v_fmamk_f16 v45, v59, 0xb93d, v25
	v_fma_f16 v25, v59, 0xb93d, -v25
	v_add_f16_sdwa v50, v104, v6 dst_sel:DWORD dst_unused:UNUSED_PAD src0_sel:DWORD src1_sel:WORD_1
	v_add_f16_e32 v36, v36, v6
	v_add_f16_sdwa v65, v65, v6 dst_sel:DWORD dst_unused:UNUSED_PAD src0_sel:DWORD src1_sel:WORD_1
	v_add_f16_e32 v2, v44, v100
	v_add_f16_e32 v17, v55, v17
	;; [unrolled: 1-line block ×7, first 2 shown]
	v_fmamk_f16 v102, v61, 0xb93d, v62
	v_fmamk_f16 v103, v63, 0xbbad, v64
	v_fmamk_f16 v108, v47, 0xb853, v69
	v_fmamk_f16 v110, v57, 0xb93d, v71
	v_fmamk_f16 v111, v59, 0xbbad, v72
	v_fmamk_f16 v112, v61, 0xb08e, v73
	v_fmamk_f16 v113, v63, 0x3abb, v74
	v_fmamk_f16 v118, v47, 0x3a0c, v79
	v_fmamk_f16 v120, v57, 0xbbad, v81
	v_fmamk_f16 v121, v59, 0x36a6, v82
	v_fmamk_f16 v122, v61, 0x3abb, v83
	v_fmamk_f16 v123, v63, 0xb93d, v84
	v_fmamk_f16 v128, v47, 0xbb47, v89
	v_fmamk_f16 v130, v57, 0xb08e, v91
	v_fmamk_f16 v131, v59, 0x3abb, v92
	v_fmamk_f16 v132, v61, 0xbbad, v93
	v_fmamk_f16 v133, v63, 0x36a6, v94
	v_fmamk_f16 v34, v47, 0x3beb, v18
	v_fmac_f16_e32 v18, 0xbbeb, v47
	v_fmac_f16_e32 v89, 0x3b47, v47
	;; [unrolled: 1-line block ×5, first 2 shown]
	v_fmamk_f16 v47, v61, 0x36a6, v26
	v_fmamk_f16 v56, v63, 0xb08e, v29
	v_fma_f16 v26, v61, 0x36a6, -v26
	v_fma_f16 v29, v63, 0xb08e, -v29
	;; [unrolled: 1-line block ×18, first 2 shown]
	v_add_f16_e32 v61, v109, v6
	v_add_f16_sdwa v62, v114, v6 dst_sel:DWORD dst_unused:UNUSED_PAD src0_sel:DWORD src1_sel:WORD_1
	v_add_f16_e32 v63, v119, v6
	v_add_f16_sdwa v64, v124, v6 dst_sel:DWORD dst_unused:UNUSED_PAD src0_sel:DWORD src1_sel:WORD_1
	;; [unrolled: 2-line block ×3, first 2 shown]
	v_add_f16_sdwa v85, v85, v6 dst_sel:DWORD dst_unused:UNUSED_PAD src0_sel:DWORD src1_sel:WORD_1
	v_add_f16_e32 v90, v90, v6
	v_add_f16_sdwa v75, v75, v6 dst_sel:DWORD dst_unused:UNUSED_PAD src0_sel:DWORD src1_sel:WORD_1
	v_add_f16_e32 v80, v80, v6
	v_add_f16_e32 v70, v70, v6
	;; [unrolled: 1-line block ×21, first 2 shown]
	v_add_f16_sdwa v1, v28, v1 dst_sel:WORD_1 dst_unused:UNUSED_PAD src0_sel:DWORD src1_sel:DWORD
	v_add_f16_e32 v0, v5, v0
	v_add_f16_e32 v21, v22, v87
	v_add_f16_e32 v22, v41, v92
	v_add_f16_e32 v25, v55, v77
	v_add_f16_e32 v6, v6, v58
	v_add_f16_e32 v3, v3, v107
	v_add_f16_e32 v26, v45, v68
	v_add_f16_e32 v45, v2, v103
	v_add_f16_e32 v15, v16, v18
	v_add_f16_e32 v16, v17, v29
	v_or_b32_sdwa v29, v1, v0 dst_sel:DWORD dst_unused:UNUSED_PAD src0_sel:DWORD src1_sel:WORD_0
	v_mad_u64_u32 v[1:2], null, s2, v40, 0
	v_add_f16_e32 v19, v21, v88
	v_add_f16_e32 v21, v22, v93
	v_add_f16_e32 v22, v25, v78
	v_add_f16_e32 v6, v6, v59
	v_mov_b32_e32 v0, v31
	v_add_f16_e32 v36, v36, v47
	v_add_f16_e32 v47, v3, v108
	v_mad_u64_u32 v[3:4], null, s3, v38, v[9:10]
	v_add_f16_e32 v17, v19, v89
	v_add_f16_e32 v19, v22, v79
	;; [unrolled: 1-line block ×9, first 2 shown]
	v_mad_u64_u32 v[4:5], null, s3, v39, v[0:1]
	v_add_co_u32 v5, vcc_lo, v23, v7
	v_add_co_ci_u32_e32 v6, vcc_lo, v24, v8, vcc_lo
	v_mov_b32_e32 v0, v2
	v_pack_b32_f16 v7, v28, v26
	v_add_nc_u32_e32 v9, 0x1b8, v20
	v_add_f16_e32 v41, v64, v82
	v_add_f16_e32 v55, v66, v72
	v_mov_b32_e32 v28, v3
	v_mov_b32_e32 v31, v4
	v_mad_u64_u32 v[2:3], null, s3, v40, v[0:1]
	global_store_dword v[10:11], v29, off
	global_store_dword v[5:6], v7, off
	v_mad_u64_u32 v[7:8], null, s2, v9, 0
	v_add_f16_e32 v25, v41, v83
	v_add_f16_e32 v41, v55, v73
	v_lshlrev_b64 v[3:4], 2, v[27:28]
	v_lshlrev_b64 v[5:6], 2, v[30:31]
	v_add_f16_e32 v18, v21, v94
	v_add_f16_e32 v21, v25, v84
	;; [unrolled: 1-line block ×3, first 2 shown]
	v_lshlrev_b64 v[0:1], 2, v[1:2]
	v_add_co_u32 v3, vcc_lo, v23, v3
	v_mov_b32_e32 v2, v8
	v_add_co_ci_u32_e32 v4, vcc_lo, v24, v4, vcc_lo
	v_add_co_u32 v5, vcc_lo, v23, v5
	v_pack_b32_f16 v10, v25, v22
	v_add_co_ci_u32_e32 v6, vcc_lo, v24, v6, vcc_lo
	v_mad_u64_u32 v[8:9], null, s3, v9, v[2:3]
	v_pack_b32_f16 v2, v21, v19
	v_add_co_u32 v0, vcc_lo, v23, v0
	global_store_dword v[3:4], v10, off
	global_store_dword v[5:6], v2, off
	v_add_nc_u32_e32 v10, 0x210, v20
	v_add_nc_u32_e32 v11, 0x268, v20
	v_add_co_ci_u32_e32 v1, vcc_lo, v24, v1, vcc_lo
	v_pack_b32_f16 v9, v18, v17
	v_add_nc_u32_e32 v17, 0x2c0, v20
	v_mad_u64_u32 v[2:3], null, s2, v10, 0
	v_mad_u64_u32 v[4:5], null, s2, v11, 0
	global_store_dword v[0:1], v9, off
	v_lshlrev_b64 v[0:1], 2, v[7:8]
	v_mad_u64_u32 v[6:7], null, s2, v17, 0
	v_pack_b32_f16 v15, v16, v15
	v_add_nc_u32_e32 v16, 0x318, v20
	v_mad_u64_u32 v[8:9], null, s3, v10, v[3:4]
	v_add_co_u32 v0, vcc_lo, v23, v0
	v_add_co_ci_u32_e32 v1, vcc_lo, v24, v1, vcc_lo
	v_mad_u64_u32 v[9:10], null, s3, v11, v[5:6]
	v_add_f16_e32 v50, v62, v115
	v_add_f16_e32 v52, v63, v120
	v_add_f16_e32 v63, v104, v135
	v_mov_b32_e32 v5, v7
	v_mad_u64_u32 v[10:11], null, s2, v16, 0
	global_store_dword v[0:1], v15, off
	v_add_nc_u32_e32 v15, 0x370, v20
	v_mov_b32_e32 v3, v8
	v_add_f16_e32 v35, v48, v111
	v_add_f16_e32 v44, v50, v116
	;; [unrolled: 1-line block ×4, first 2 shown]
	v_mad_u64_u32 v[7:8], null, s3, v17, v[5:6]
	v_mov_b32_e32 v5, v9
	v_mad_u64_u32 v[8:9], null, s2, v15, 0
	v_lshlrev_b64 v[0:1], 2, v[2:3]
	v_mov_b32_e32 v2, v11
	v_add_f16_e32 v12, v35, v112
	v_add_f16_e32 v35, v44, v117
	;; [unrolled: 1-line block ×4, first 2 shown]
	v_mad_u64_u32 v[2:3], null, s3, v16, v[2:3]
	v_lshlrev_b64 v[4:5], 2, v[4:5]
	v_add_f16_e32 v51, v12, v113
	v_add_f16_e32 v12, v50, v34
	;; [unrolled: 1-line block ×3, first 2 shown]
	v_mov_b32_e32 v3, v9
	v_add_f16_e32 v62, v99, v130
	v_add_f16_e32 v48, v52, v121
	v_add_co_u32 v0, vcc_lo, v23, v0
	v_pack_b32_f16 v16, v13, v12
	v_mad_u64_u32 v[12:13], null, s3, v15, v[3:4]
	v_add_f16_e32 v52, v62, v131
	v_mov_b32_e32 v11, v2
	v_add_co_ci_u32_e32 v1, vcc_lo, v24, v1, vcc_lo
	v_lshlrev_b64 v[6:7], 2, v[6:7]
	v_add_f16_e32 v37, v48, v122
	v_add_f16_e32 v48, v52, v132
	v_add_co_u32 v2, vcc_lo, v23, v4
	v_mov_b32_e32 v9, v12
	v_add_co_ci_u32_e32 v3, vcc_lo, v24, v5, vcc_lo
	v_lshlrev_b64 v[4:5], 2, v[10:11]
	v_add_f16_e32 v44, v44, v128
	v_add_f16_e32 v14, v48, v133
	v_add_co_u32 v6, vcc_lo, v23, v6
	v_lshlrev_b64 v[8:9], 2, v[8:9]
	v_add_f16_e32 v35, v35, v118
	v_add_f16_e32 v37, v37, v123
	v_add_co_ci_u32_e32 v7, vcc_lo, v24, v7, vcc_lo
	v_add_co_u32 v4, vcc_lo, v23, v4
	v_pack_b32_f16 v13, v14, v44
	v_add_co_ci_u32_e32 v5, vcc_lo, v24, v5, vcc_lo
	v_pack_b32_f16 v10, v37, v35
	v_add_co_u32 v8, vcc_lo, v23, v8
	v_pack_b32_f16 v11, v51, v47
	v_add_co_ci_u32_e32 v9, vcc_lo, v24, v9, vcc_lo
	v_pack_b32_f16 v12, v45, v42
	global_store_dword v[0:1], v16, off
	global_store_dword v[2:3], v13, off
	;; [unrolled: 1-line block ×5, first 2 shown]
.LBB0_27:
	s_endpgm
	.section	.rodata,"a",@progbits
	.p2align	6, 0x0
	.amdhsa_kernel fft_rtc_fwd_len968_factors_2_2_2_11_11_wgs_176_tpt_88_half_op_CI_CI_sbrr_dirReg
		.amdhsa_group_segment_fixed_size 0
		.amdhsa_private_segment_fixed_size 0
		.amdhsa_kernarg_size 104
		.amdhsa_user_sgpr_count 6
		.amdhsa_user_sgpr_private_segment_buffer 1
		.amdhsa_user_sgpr_dispatch_ptr 0
		.amdhsa_user_sgpr_queue_ptr 0
		.amdhsa_user_sgpr_kernarg_segment_ptr 1
		.amdhsa_user_sgpr_dispatch_id 0
		.amdhsa_user_sgpr_flat_scratch_init 0
		.amdhsa_user_sgpr_private_segment_size 0
		.amdhsa_wavefront_size32 1
		.amdhsa_uses_dynamic_stack 0
		.amdhsa_system_sgpr_private_segment_wavefront_offset 0
		.amdhsa_system_sgpr_workgroup_id_x 1
		.amdhsa_system_sgpr_workgroup_id_y 0
		.amdhsa_system_sgpr_workgroup_id_z 0
		.amdhsa_system_sgpr_workgroup_info 0
		.amdhsa_system_vgpr_workitem_id 0
		.amdhsa_next_free_vgpr 138
		.amdhsa_next_free_sgpr 31
		.amdhsa_reserve_vcc 1
		.amdhsa_reserve_flat_scratch 0
		.amdhsa_float_round_mode_32 0
		.amdhsa_float_round_mode_16_64 0
		.amdhsa_float_denorm_mode_32 3
		.amdhsa_float_denorm_mode_16_64 3
		.amdhsa_dx10_clamp 1
		.amdhsa_ieee_mode 1
		.amdhsa_fp16_overflow 0
		.amdhsa_workgroup_processor_mode 1
		.amdhsa_memory_ordered 1
		.amdhsa_forward_progress 0
		.amdhsa_shared_vgpr_count 0
		.amdhsa_exception_fp_ieee_invalid_op 0
		.amdhsa_exception_fp_denorm_src 0
		.amdhsa_exception_fp_ieee_div_zero 0
		.amdhsa_exception_fp_ieee_overflow 0
		.amdhsa_exception_fp_ieee_underflow 0
		.amdhsa_exception_fp_ieee_inexact 0
		.amdhsa_exception_int_div_zero 0
	.end_amdhsa_kernel
	.text
.Lfunc_end0:
	.size	fft_rtc_fwd_len968_factors_2_2_2_11_11_wgs_176_tpt_88_half_op_CI_CI_sbrr_dirReg, .Lfunc_end0-fft_rtc_fwd_len968_factors_2_2_2_11_11_wgs_176_tpt_88_half_op_CI_CI_sbrr_dirReg
                                        ; -- End function
	.section	.AMDGPU.csdata,"",@progbits
; Kernel info:
; codeLenInByte = 9896
; NumSgprs: 33
; NumVgprs: 138
; ScratchSize: 0
; MemoryBound: 0
; FloatMode: 240
; IeeeMode: 1
; LDSByteSize: 0 bytes/workgroup (compile time only)
; SGPRBlocks: 4
; VGPRBlocks: 17
; NumSGPRsForWavesPerEU: 33
; NumVGPRsForWavesPerEU: 138
; Occupancy: 7
; WaveLimiterHint : 1
; COMPUTE_PGM_RSRC2:SCRATCH_EN: 0
; COMPUTE_PGM_RSRC2:USER_SGPR: 6
; COMPUTE_PGM_RSRC2:TRAP_HANDLER: 0
; COMPUTE_PGM_RSRC2:TGID_X_EN: 1
; COMPUTE_PGM_RSRC2:TGID_Y_EN: 0
; COMPUTE_PGM_RSRC2:TGID_Z_EN: 0
; COMPUTE_PGM_RSRC2:TIDIG_COMP_CNT: 0
	.text
	.p2alignl 6, 3214868480
	.fill 48, 4, 3214868480
	.type	__hip_cuid_c832b0ba7db1854d,@object ; @__hip_cuid_c832b0ba7db1854d
	.section	.bss,"aw",@nobits
	.globl	__hip_cuid_c832b0ba7db1854d
__hip_cuid_c832b0ba7db1854d:
	.byte	0                               ; 0x0
	.size	__hip_cuid_c832b0ba7db1854d, 1

	.ident	"AMD clang version 19.0.0git (https://github.com/RadeonOpenCompute/llvm-project roc-6.4.0 25133 c7fe45cf4b819c5991fe208aaa96edf142730f1d)"
	.section	".note.GNU-stack","",@progbits
	.addrsig
	.addrsig_sym __hip_cuid_c832b0ba7db1854d
	.amdgpu_metadata
---
amdhsa.kernels:
  - .args:
      - .actual_access:  read_only
        .address_space:  global
        .offset:         0
        .size:           8
        .value_kind:     global_buffer
      - .offset:         8
        .size:           8
        .value_kind:     by_value
      - .actual_access:  read_only
        .address_space:  global
        .offset:         16
        .size:           8
        .value_kind:     global_buffer
      - .actual_access:  read_only
        .address_space:  global
        .offset:         24
        .size:           8
        .value_kind:     global_buffer
      - .actual_access:  read_only
        .address_space:  global
        .offset:         32
        .size:           8
        .value_kind:     global_buffer
      - .offset:         40
        .size:           8
        .value_kind:     by_value
      - .actual_access:  read_only
        .address_space:  global
        .offset:         48
        .size:           8
        .value_kind:     global_buffer
      - .actual_access:  read_only
        .address_space:  global
        .offset:         56
        .size:           8
        .value_kind:     global_buffer
      - .offset:         64
        .size:           4
        .value_kind:     by_value
      - .actual_access:  read_only
        .address_space:  global
        .offset:         72
        .size:           8
        .value_kind:     global_buffer
      - .actual_access:  read_only
        .address_space:  global
        .offset:         80
        .size:           8
        .value_kind:     global_buffer
      - .actual_access:  read_only
        .address_space:  global
        .offset:         88
        .size:           8
        .value_kind:     global_buffer
      - .actual_access:  write_only
        .address_space:  global
        .offset:         96
        .size:           8
        .value_kind:     global_buffer
    .group_segment_fixed_size: 0
    .kernarg_segment_align: 8
    .kernarg_segment_size: 104
    .language:       OpenCL C
    .language_version:
      - 2
      - 0
    .max_flat_workgroup_size: 176
    .name:           fft_rtc_fwd_len968_factors_2_2_2_11_11_wgs_176_tpt_88_half_op_CI_CI_sbrr_dirReg
    .private_segment_fixed_size: 0
    .sgpr_count:     33
    .sgpr_spill_count: 0
    .symbol:         fft_rtc_fwd_len968_factors_2_2_2_11_11_wgs_176_tpt_88_half_op_CI_CI_sbrr_dirReg.kd
    .uniform_work_group_size: 1
    .uses_dynamic_stack: false
    .vgpr_count:     138
    .vgpr_spill_count: 0
    .wavefront_size: 32
    .workgroup_processor_mode: 1
amdhsa.target:   amdgcn-amd-amdhsa--gfx1030
amdhsa.version:
  - 1
  - 2
...

	.end_amdgpu_metadata
